;; amdgpu-corpus repo=zjin-lcf/HeCBench kind=compiled arch=gfx906 opt=O3
	.amdgcn_target "amdgcn-amd-amdhsa--gfx906"
	.amdhsa_code_object_version 6
	.text
	.protected	_Z10k_findPeakPKfmP4Peak ; -- Begin function _Z10k_findPeakPKfmP4Peak
	.globl	_Z10k_findPeakPKfmP4Peak
	.p2align	8
	.type	_Z10k_findPeakPKfmP4Peak,@function
_Z10k_findPeakPKfmP4Peak:               ; @_Z10k_findPeakPKfmP4Peak
; %bb.0:
	s_load_dword s0, s[4:5], 0x24
	s_load_dwordx4 s[8:11], s[4:5], 0x8
	v_mov_b32_e32 v2, 0
	v_mov_b32_e32 v3, 0
	;; [unrolled: 1-line block ×3, first 2 shown]
	s_waitcnt lgkmcnt(0)
	s_and_b32 s0, s0, 0xffff
	s_mul_i32 s0, s6, s0
	v_add_u32_e32 v1, s0, v0
	v_cmp_gt_u64_e32 vcc, s[8:9], v[1:2]
	s_and_saveexec_b64 s[2:3], vcc
	s_cbranch_execz .LBB0_4
; %bb.1:
	s_load_dwordx2 s[0:1], s[4:5], 0x0
	v_lshlrev_b64 v[3:4], 2, v[1:2]
	v_mov_b32_e32 v8, v2
	s_mov_b64 s[4:5], 0
	v_mov_b32_e32 v7, v1
	s_waitcnt lgkmcnt(0)
	v_mov_b32_e32 v6, s1
	v_add_co_u32_e32 v5, vcc, s0, v3
	v_addc_co_u32_e32 v6, vcc, v6, v4, vcc
	v_mov_b32_e32 v3, 0
	v_mov_b32_e32 v4, 0
	;; [unrolled: 1-line block ×3, first 2 shown]
.LBB0_2:                                ; =>This Inner Loop Header: Depth=1
	global_load_dword v1, v[5:6], off
	s_waitcnt vmcnt(0)
	v_cmp_gt_f32_e64 vcc, |v1|, |v2|
	v_cndmask_b32_e32 v2, v2, v1, vcc
	v_cndmask_b32_e32 v4, v4, v8, vcc
	v_cndmask_b32_e32 v3, v3, v7, vcc
	v_add_co_u32_e32 v7, vcc, 0x8000, v7
	v_addc_co_u32_e32 v8, vcc, 0, v8, vcc
	v_cmp_le_u64_e64 s[0:1], s[8:9], v[7:8]
	v_add_co_u32_e32 v5, vcc, 0x20000, v5
	s_or_b64 s[4:5], s[0:1], s[4:5]
	v_addc_co_u32_e32 v6, vcc, 0, v6, vcc
	s_andn2_b64 exec, exec, s[4:5]
	s_cbranch_execnz .LBB0_2
; %bb.3:
	s_or_b64 exec, exec, s[4:5]
.LBB0_4:
	s_or_b64 exec, exec, s[2:3]
	v_lshlrev_b32_e32 v1, 2, v0
	ds_write_b32 v1, v2 offset:2048
	v_lshlrev_b32_e32 v1, 3, v0
	s_mov_b32 s0, 0
	v_cmp_eq_u32_e32 vcc, 0, v0
	ds_write_b64 v1, v[3:4]
	s_waitcnt lgkmcnt(0)
	s_barrier
	s_and_saveexec_b64 s[2:3], vcc
	s_cbranch_execz .LBB0_25
; %bb.5:
	v_mov_b32_e32 v0, 0
	s_movk_i32 s1, 0xf800
	v_mov_b32_e32 v1, 0
	v_mov_b32_e32 v2, 0
	s_branch .LBB0_7
.LBB0_6:                                ;   in Loop: Header=BB0_7 Depth=1
	s_add_i32 s1, s1, 64
	s_add_i32 s0, s0, 32
	s_cmp_eq_u32 s1, 0
	s_cbranch_scc1 .LBB0_24
.LBB0_7:                                ; =>This Inner Loop Header: Depth=1
	v_mov_b32_e32 v3, s0
	ds_read_b32 v4, v3 offset:2048
	s_waitcnt lgkmcnt(0)
	v_cmp_ngt_f32_e64 s[2:3], |v4|, |v2|
	s_and_b64 vcc, exec, s[2:3]
	s_cbranch_vccnz .LBB0_9
; %bb.8:                                ;   in Loop: Header=BB0_7 Depth=1
	v_mov_b32_e32 v0, s1
	ds_read_b64 v[0:1], v0 offset:2048
	v_and_b32_e32 v3, 0x7fffffff, v4
	v_mov_b32_e32 v2, v4
	s_branch .LBB0_10
.LBB0_9:                                ;   in Loop: Header=BB0_7 Depth=1
	v_and_b32_e32 v3, 0x7fffffff, v2
.LBB0_10:                               ;   in Loop: Header=BB0_7 Depth=1
	v_mov_b32_e32 v4, s0
	ds_read_b32 v4, v4 offset:2052
	s_waitcnt lgkmcnt(0)
	v_cmp_ngt_f32_e64 s[2:3], |v4|, v3
	s_and_b64 vcc, exec, s[2:3]
	s_cbranch_vccnz .LBB0_12
; %bb.11:                               ;   in Loop: Header=BB0_7 Depth=1
	v_mov_b32_e32 v0, s1
	ds_read_b64 v[0:1], v0 offset:2056
	v_and_b32_e32 v3, 0x7fffffff, v4
	v_mov_b32_e32 v2, v4
.LBB0_12:                               ;   in Loop: Header=BB0_7 Depth=1
	v_mov_b32_e32 v4, s0
	ds_read_b32 v4, v4 offset:2056
	s_waitcnt lgkmcnt(0)
	v_cmp_ngt_f32_e64 s[2:3], |v4|, v3
	s_and_b64 vcc, exec, s[2:3]
	s_cbranch_vccnz .LBB0_14
; %bb.13:                               ;   in Loop: Header=BB0_7 Depth=1
	v_mov_b32_e32 v0, s1
	ds_read_b64 v[0:1], v0 offset:2064
	v_and_b32_e32 v3, 0x7fffffff, v4
	v_mov_b32_e32 v2, v4
.LBB0_14:                               ;   in Loop: Header=BB0_7 Depth=1
	;; [unrolled: 12-line block ×6, first 2 shown]
	v_mov_b32_e32 v4, s0
	ds_read_b32 v4, v4 offset:2076
	s_waitcnt lgkmcnt(0)
	v_cmp_ngt_f32_e64 s[2:3], |v4|, v3
	s_and_b64 vcc, exec, s[2:3]
	s_cbranch_vccnz .LBB0_6
; %bb.23:                               ;   in Loop: Header=BB0_7 Depth=1
	v_mov_b32_e32 v0, s1
	ds_read_b64 v[0:1], v0 offset:2104
	v_mov_b32_e32 v2, v4
	s_branch .LBB0_6
.LBB0_24:
	s_mov_b32 s7, 0
	s_lshl_b64 s[0:1], s[6:7], 4
	s_add_u32 s0, s10, s0
	s_addc_u32 s1, s11, s1
	v_mov_b32_e32 v3, 0
	s_waitcnt lgkmcnt(0)
	global_store_dwordx3 v3, v[0:2], s[0:1]
.LBB0_25:
	s_endpgm
	.section	.rodata,"a",@progbits
	.p2align	6, 0x0
	.amdhsa_kernel _Z10k_findPeakPKfmP4Peak
		.amdhsa_group_segment_fixed_size 3072
		.amdhsa_private_segment_fixed_size 0
		.amdhsa_kernarg_size 280
		.amdhsa_user_sgpr_count 6
		.amdhsa_user_sgpr_private_segment_buffer 1
		.amdhsa_user_sgpr_dispatch_ptr 0
		.amdhsa_user_sgpr_queue_ptr 0
		.amdhsa_user_sgpr_kernarg_segment_ptr 1
		.amdhsa_user_sgpr_dispatch_id 0
		.amdhsa_user_sgpr_flat_scratch_init 0
		.amdhsa_user_sgpr_private_segment_size 0
		.amdhsa_uses_dynamic_stack 0
		.amdhsa_system_sgpr_private_segment_wavefront_offset 0
		.amdhsa_system_sgpr_workgroup_id_x 1
		.amdhsa_system_sgpr_workgroup_id_y 0
		.amdhsa_system_sgpr_workgroup_id_z 0
		.amdhsa_system_sgpr_workgroup_info 0
		.amdhsa_system_vgpr_workitem_id 0
		.amdhsa_next_free_vgpr 29
		.amdhsa_next_free_sgpr 61
		.amdhsa_reserve_vcc 1
		.amdhsa_reserve_flat_scratch 0
		.amdhsa_float_round_mode_32 0
		.amdhsa_float_round_mode_16_64 0
		.amdhsa_float_denorm_mode_32 3
		.amdhsa_float_denorm_mode_16_64 3
		.amdhsa_dx10_clamp 1
		.amdhsa_ieee_mode 1
		.amdhsa_fp16_overflow 0
		.amdhsa_exception_fp_ieee_invalid_op 0
		.amdhsa_exception_fp_denorm_src 0
		.amdhsa_exception_fp_ieee_div_zero 0
		.amdhsa_exception_fp_ieee_overflow 0
		.amdhsa_exception_fp_ieee_underflow 0
		.amdhsa_exception_fp_ieee_inexact 0
		.amdhsa_exception_int_div_zero 0
	.end_amdhsa_kernel
	.text
.Lfunc_end0:
	.size	_Z10k_findPeakPKfmP4Peak, .Lfunc_end0-_Z10k_findPeakPKfmP4Peak
                                        ; -- End function
	.set _Z10k_findPeakPKfmP4Peak.num_vgpr, 9
	.set _Z10k_findPeakPKfmP4Peak.num_agpr, 0
	.set _Z10k_findPeakPKfmP4Peak.numbered_sgpr, 12
	.set _Z10k_findPeakPKfmP4Peak.num_named_barrier, 0
	.set _Z10k_findPeakPKfmP4Peak.private_seg_size, 0
	.set _Z10k_findPeakPKfmP4Peak.uses_vcc, 1
	.set _Z10k_findPeakPKfmP4Peak.uses_flat_scratch, 0
	.set _Z10k_findPeakPKfmP4Peak.has_dyn_sized_stack, 0
	.set _Z10k_findPeakPKfmP4Peak.has_recursion, 0
	.set _Z10k_findPeakPKfmP4Peak.has_indirect_call, 0
	.section	.AMDGPU.csdata,"",@progbits
; Kernel info:
; codeLenInByte = 776
; TotalNumSgprs: 16
; NumVgprs: 9
; ScratchSize: 0
; MemoryBound: 0
; FloatMode: 240
; IeeeMode: 1
; LDSByteSize: 3072 bytes/workgroup (compile time only)
; SGPRBlocks: 8
; VGPRBlocks: 7
; NumSGPRsForWavesPerEU: 65
; NumVGPRsForWavesPerEU: 29
; Occupancy: 8
; WaveLimiterHint : 0
; COMPUTE_PGM_RSRC2:SCRATCH_EN: 0
; COMPUTE_PGM_RSRC2:USER_SGPR: 6
; COMPUTE_PGM_RSRC2:TRAP_HANDLER: 0
; COMPUTE_PGM_RSRC2:TGID_X_EN: 1
; COMPUTE_PGM_RSRC2:TGID_Y_EN: 0
; COMPUTE_PGM_RSRC2:TGID_Z_EN: 0
; COMPUTE_PGM_RSRC2:TIDIG_COMP_CNT: 0
	.text
	.protected	_Z13k_subtractPSFPKfiPfiiiiiiiff ; -- Begin function _Z13k_subtractPSFPKfiPfiiiiiiiff
	.globl	_Z13k_subtractPSFPKfiPfiiiiiiiff
	.p2align	8
	.type	_Z13k_subtractPSFPKfiPfiiiiiiiff,@function
_Z13k_subtractPSFPKfiPfiiiiiiiff:       ; @_Z13k_subtractPSFPKfiPfiiiiiiiff
; %bb.0:
	s_load_dword s0, s[4:5], 0x4c
	s_load_dwordx8 s[8:15], s[4:5], 0x18
	s_waitcnt lgkmcnt(0)
	s_lshr_b32 s1, s0, 16
	s_and_b32 s0, s0, 0xffff
	s_mul_i32 s0, s6, s0
	s_add_i32 s0, s0, s9
	v_add_u32_e32 v0, s0, v0
	s_mul_i32 s0, s7, s1
	s_add_i32 s0, s0, s10
	v_add_u32_e32 v1, s0, v1
	v_cmp_ge_i32_e32 vcc, s11, v0
	v_cmp_ge_i32_e64 s[0:1], s12, v1
	s_and_b64 s[0:1], vcc, s[0:1]
	s_and_saveexec_b64 s[2:3], s[0:1]
	s_cbranch_execz .LBB1_2
; %bb.1:
	s_load_dword s6, s[4:5], 0x38
	s_load_dword s2, s[4:5], 0x8
	s_load_dwordx2 s[0:1], s[4:5], 0x0
	v_subrev_u32_e32 v2, s13, v0
	v_subrev_u32_e32 v3, s14, v1
	s_waitcnt lgkmcnt(0)
	v_mad_u64_u32 v[2:3], s[2:3], v3, s2, v[2:3]
	s_load_dwordx2 s[2:3], s[4:5], 0x10
	v_mad_u64_u32 v[0:1], s[4:5], v1, s8, v[0:1]
	v_ashrrev_i32_e32 v3, 31, v2
	v_lshlrev_b64 v[2:3], 2, v[2:3]
	v_mov_b32_e32 v4, s1
	v_add_co_u32_e32 v1, vcc, s0, v2
	v_addc_co_u32_e32 v2, vcc, v4, v3, vcc
	global_load_dword v2, v[1:2], off
	v_ashrrev_i32_e32 v1, 31, v0
	v_lshlrev_b64 v[0:1], 2, v[0:1]
	s_waitcnt lgkmcnt(0)
	v_mov_b32_e32 v3, s3
	v_add_co_u32_e32 v0, vcc, s2, v0
	v_addc_co_u32_e32 v1, vcc, v3, v1, vcc
	global_load_dword v3, v[0:1], off
	v_mov_b32_e32 v4, s6
	v_mul_f32_e32 v4, s15, v4
	s_waitcnt vmcnt(0)
	v_fma_f32 v2, -v4, v2, v3
	global_store_dword v[0:1], v2, off
.LBB1_2:
	s_endpgm
	.section	.rodata,"a",@progbits
	.p2align	6, 0x0
	.amdhsa_kernel _Z13k_subtractPSFPKfiPfiiiiiiiff
		.amdhsa_group_segment_fixed_size 0
		.amdhsa_private_segment_fixed_size 0
		.amdhsa_kernarg_size 320
		.amdhsa_user_sgpr_count 6
		.amdhsa_user_sgpr_private_segment_buffer 1
		.amdhsa_user_sgpr_dispatch_ptr 0
		.amdhsa_user_sgpr_queue_ptr 0
		.amdhsa_user_sgpr_kernarg_segment_ptr 1
		.amdhsa_user_sgpr_dispatch_id 0
		.amdhsa_user_sgpr_flat_scratch_init 0
		.amdhsa_user_sgpr_private_segment_size 0
		.amdhsa_uses_dynamic_stack 0
		.amdhsa_system_sgpr_private_segment_wavefront_offset 0
		.amdhsa_system_sgpr_workgroup_id_x 1
		.amdhsa_system_sgpr_workgroup_id_y 1
		.amdhsa_system_sgpr_workgroup_id_z 0
		.amdhsa_system_sgpr_workgroup_info 0
		.amdhsa_system_vgpr_workitem_id 1
		.amdhsa_next_free_vgpr 5
		.amdhsa_next_free_sgpr 16
		.amdhsa_reserve_vcc 1
		.amdhsa_reserve_flat_scratch 0
		.amdhsa_float_round_mode_32 0
		.amdhsa_float_round_mode_16_64 0
		.amdhsa_float_denorm_mode_32 3
		.amdhsa_float_denorm_mode_16_64 3
		.amdhsa_dx10_clamp 1
		.amdhsa_ieee_mode 1
		.amdhsa_fp16_overflow 0
		.amdhsa_exception_fp_ieee_invalid_op 0
		.amdhsa_exception_fp_denorm_src 0
		.amdhsa_exception_fp_ieee_div_zero 0
		.amdhsa_exception_fp_ieee_overflow 0
		.amdhsa_exception_fp_ieee_underflow 0
		.amdhsa_exception_fp_ieee_inexact 0
		.amdhsa_exception_int_div_zero 0
	.end_amdhsa_kernel
	.text
.Lfunc_end1:
	.size	_Z13k_subtractPSFPKfiPfiiiiiiiff, .Lfunc_end1-_Z13k_subtractPSFPKfiPfiiiiiiiff
                                        ; -- End function
	.set _Z13k_subtractPSFPKfiPfiiiiiiiff.num_vgpr, 5
	.set _Z13k_subtractPSFPKfiPfiiiiiiiff.num_agpr, 0
	.set _Z13k_subtractPSFPKfiPfiiiiiiiff.numbered_sgpr, 16
	.set _Z13k_subtractPSFPKfiPfiiiiiiiff.num_named_barrier, 0
	.set _Z13k_subtractPSFPKfiPfiiiiiiiff.private_seg_size, 0
	.set _Z13k_subtractPSFPKfiPfiiiiiiiff.uses_vcc, 1
	.set _Z13k_subtractPSFPKfiPfiiiiiiiff.uses_flat_scratch, 0
	.set _Z13k_subtractPSFPKfiPfiiiiiiiff.has_dyn_sized_stack, 0
	.set _Z13k_subtractPSFPKfiPfiiiiiiiff.has_recursion, 0
	.set _Z13k_subtractPSFPKfiPfiiiiiiiff.has_indirect_call, 0
	.section	.AMDGPU.csdata,"",@progbits
; Kernel info:
; codeLenInByte = 240
; TotalNumSgprs: 20
; NumVgprs: 5
; ScratchSize: 0
; MemoryBound: 0
; FloatMode: 240
; IeeeMode: 1
; LDSByteSize: 0 bytes/workgroup (compile time only)
; SGPRBlocks: 2
; VGPRBlocks: 1
; NumSGPRsForWavesPerEU: 20
; NumVGPRsForWavesPerEU: 5
; Occupancy: 10
; WaveLimiterHint : 0
; COMPUTE_PGM_RSRC2:SCRATCH_EN: 0
; COMPUTE_PGM_RSRC2:USER_SGPR: 6
; COMPUTE_PGM_RSRC2:TRAP_HANDLER: 0
; COMPUTE_PGM_RSRC2:TGID_X_EN: 1
; COMPUTE_PGM_RSRC2:TGID_Y_EN: 1
; COMPUTE_PGM_RSRC2:TGID_Z_EN: 0
; COMPUTE_PGM_RSRC2:TIDIG_COMP_CNT: 1
	.section	.AMDGPU.gpr_maximums,"",@progbits
	.set amdgpu.max_num_vgpr, 0
	.set amdgpu.max_num_agpr, 0
	.set amdgpu.max_num_sgpr, 0
	.section	.AMDGPU.csdata,"",@progbits
	.type	__hip_cuid_1f19b2f0bc18a5a1,@object ; @__hip_cuid_1f19b2f0bc18a5a1
	.section	.bss,"aw",@nobits
	.globl	__hip_cuid_1f19b2f0bc18a5a1
__hip_cuid_1f19b2f0bc18a5a1:
	.byte	0                               ; 0x0
	.size	__hip_cuid_1f19b2f0bc18a5a1, 1

	.ident	"AMD clang version 22.0.0git (https://github.com/RadeonOpenCompute/llvm-project roc-7.2.4 26084 f58b06dce1f9c15707c5f808fd002e18c2accf7e)"
	.section	".note.GNU-stack","",@progbits
	.addrsig
	.addrsig_sym __hip_cuid_1f19b2f0bc18a5a1
	.amdgpu_metadata
---
amdhsa.kernels:
  - .args:
      - .actual_access:  read_only
        .address_space:  global
        .offset:         0
        .size:           8
        .value_kind:     global_buffer
      - .offset:         8
        .size:           8
        .value_kind:     by_value
      - .actual_access:  write_only
        .address_space:  global
        .offset:         16
        .size:           8
        .value_kind:     global_buffer
      - .offset:         24
        .size:           4
        .value_kind:     hidden_block_count_x
      - .offset:         28
        .size:           4
        .value_kind:     hidden_block_count_y
      - .offset:         32
        .size:           4
        .value_kind:     hidden_block_count_z
      - .offset:         36
        .size:           2
        .value_kind:     hidden_group_size_x
      - .offset:         38
        .size:           2
        .value_kind:     hidden_group_size_y
      - .offset:         40
        .size:           2
        .value_kind:     hidden_group_size_z
      - .offset:         42
        .size:           2
        .value_kind:     hidden_remainder_x
      - .offset:         44
        .size:           2
        .value_kind:     hidden_remainder_y
      - .offset:         46
        .size:           2
        .value_kind:     hidden_remainder_z
      - .offset:         64
        .size:           8
        .value_kind:     hidden_global_offset_x
      - .offset:         72
        .size:           8
        .value_kind:     hidden_global_offset_y
      - .offset:         80
        .size:           8
        .value_kind:     hidden_global_offset_z
      - .offset:         88
        .size:           2
        .value_kind:     hidden_grid_dims
    .group_segment_fixed_size: 3072
    .kernarg_segment_align: 8
    .kernarg_segment_size: 280
    .language:       OpenCL C
    .language_version:
      - 2
      - 0
    .max_flat_workgroup_size: 1024
    .name:           _Z10k_findPeakPKfmP4Peak
    .private_segment_fixed_size: 0
    .sgpr_count:     16
    .sgpr_spill_count: 0
    .symbol:         _Z10k_findPeakPKfmP4Peak.kd
    .uniform_work_group_size: 1
    .uses_dynamic_stack: false
    .vgpr_count:     9
    .vgpr_spill_count: 0
    .wavefront_size: 64
  - .args:
      - .actual_access:  read_only
        .address_space:  global
        .offset:         0
        .size:           8
        .value_kind:     global_buffer
      - .offset:         8
        .size:           4
        .value_kind:     by_value
      - .address_space:  global
        .offset:         16
        .size:           8
        .value_kind:     global_buffer
      - .offset:         24
        .size:           4
        .value_kind:     by_value
      - .offset:         28
        .size:           4
        .value_kind:     by_value
      - .offset:         32
        .size:           4
        .value_kind:     by_value
      - .offset:         36
        .size:           4
        .value_kind:     by_value
      - .offset:         40
        .size:           4
        .value_kind:     by_value
      - .offset:         44
        .size:           4
        .value_kind:     by_value
      - .offset:         48
        .size:           4
        .value_kind:     by_value
      - .offset:         52
        .size:           4
        .value_kind:     by_value
      - .offset:         56
        .size:           4
        .value_kind:     by_value
      - .offset:         64
        .size:           4
        .value_kind:     hidden_block_count_x
      - .offset:         68
        .size:           4
        .value_kind:     hidden_block_count_y
      - .offset:         72
        .size:           4
        .value_kind:     hidden_block_count_z
      - .offset:         76
        .size:           2
        .value_kind:     hidden_group_size_x
      - .offset:         78
        .size:           2
        .value_kind:     hidden_group_size_y
      - .offset:         80
        .size:           2
        .value_kind:     hidden_group_size_z
      - .offset:         82
        .size:           2
        .value_kind:     hidden_remainder_x
      - .offset:         84
        .size:           2
        .value_kind:     hidden_remainder_y
      - .offset:         86
        .size:           2
        .value_kind:     hidden_remainder_z
      - .offset:         104
        .size:           8
        .value_kind:     hidden_global_offset_x
      - .offset:         112
        .size:           8
        .value_kind:     hidden_global_offset_y
      - .offset:         120
        .size:           8
        .value_kind:     hidden_global_offset_z
      - .offset:         128
        .size:           2
        .value_kind:     hidden_grid_dims
    .group_segment_fixed_size: 0
    .kernarg_segment_align: 8
    .kernarg_segment_size: 320
    .language:       OpenCL C
    .language_version:
      - 2
      - 0
    .max_flat_workgroup_size: 1024
    .name:           _Z13k_subtractPSFPKfiPfiiiiiiiff
    .private_segment_fixed_size: 0
    .sgpr_count:     20
    .sgpr_spill_count: 0
    .symbol:         _Z13k_subtractPSFPKfiPfiiiiiiiff.kd
    .uniform_work_group_size: 1
    .uses_dynamic_stack: false
    .vgpr_count:     5
    .vgpr_spill_count: 0
    .wavefront_size: 64
amdhsa.target:   amdgcn-amd-amdhsa--gfx906
amdhsa.version:
  - 1
  - 2
...

	.end_amdgpu_metadata
